;; amdgpu-corpus repo=FlagOpen/FlagGems kind=triton arch=gfx950 opt=O3 lang=triton
	.amdgcn_target "amdgcn-amd-amdhsa--gfx950"
	.amdhsa_code_object_version 5
	.text
	.globl	reglu_kernel                    ; -- Begin function reglu_kernel
	.p2align	8
	.type	reglu_kernel,@function
reglu_kernel:                           ; @reglu_kernel
.Lfunc_begin0:
	.cfi_sections .debug_frame
	.cfi_startproc
; %bb.97:
	.file	1 "/root/src/amdgpu-assembly/repos/FlagOpen__FlagGems/triton_aot_kernels" "reglu_aot.py"
	.loc	1 8 0 prologue_end              ; reglu_aot.py:8:0
	s_load_dwordx2 s[2:3], s[0:1], 0x0
	s_load_dwordx8 s[4:11], s[0:1], 0x8
	s_load_dwordx4 s[12:15], s[0:1], 0x28
	s_waitcnt lgkmcnt(0)
	s_branch .LBB0_0
	.loc	1 0 0 is_stmt 0                 ; :0:0
.Ltmp0:
	.p2align	8
; %bb.98:
.LBB0_0:
.Ltmp1:
	.loc	1 23 44 is_stmt 1               ; reglu_aot.py:23:44
	v_readfirstlane_b32 s0, v0
	.loc	1 34 20                         ; reglu_aot.py:34:20
	s_and_b32 s1, s0, 64
	.loc	1 22 21                         ; reglu_aot.py:22:21
	s_lshl_b32 s12, s16, 5
	.loc	1 22 44 is_stmt 0               ; reglu_aot.py:22:44
	s_bfe_u32 s0, s0, 0x10007
	.loc	1 22 31                         ; reglu_aot.py:22:31
	s_or_b32 s33, s0, s12
	.loc	1 24 40 is_stmt 1               ; reglu_aot.py:24:40
	s_mul_i32 s0, s33, s8
	.loc	1 22 44                         ; reglu_aot.py:22:44
	v_and_or_b32 v0, v0, 63, s1
	.loc	1 24 22                         ; reglu_aot.py:24:22
	s_ashr_i32 s1, s0, 31
	s_lshl_b64 s[0:1], s[0:1], 1
	s_add_u32 s42, s2, s0
	s_addc_u32 s43, s3, s1
	.loc	1 23 31                         ; reglu_aot.py:23:31
	v_lshl_or_b32 v4, s17, 7, v0
	.loc	1 29 30                         ; reglu_aot.py:29:30
	s_cmp_lt_i32 s33, s6
	.loc	1 24 71                         ; reglu_aot.py:24:71
	v_mul_lo_u32 v0, v4, s9
	.loc	1 29 30                         ; reglu_aot.py:29:30
	s_cselect_b64 s[0:1], -1, 0
	.loc	1 29 54 is_stmt 0               ; reglu_aot.py:29:54
	v_cmp_gt_i32_e32 vcc, s7, v4
	.loc	1 30 22 is_stmt 1               ; reglu_aot.py:30:22
	v_mov_b32_e32 v2, 0
	.loc	1 24 53                         ; reglu_aot.py:24:53
	v_ashrrev_i32_e32 v1, 31, v0
	.loc	1 29 36                         ; reglu_aot.py:29:36
	s_and_b64 s[0:1], s[0:1], vcc
	v_mov_b32_e32 v5, v2
	.loc	1 30 22                         ; reglu_aot.py:30:22
	s_and_saveexec_b64 s[12:13], s[0:1]
	s_cbranch_execz .LBB0_2
; %bb.1:
	.loc	1 0 22 is_stmt 0                ; reglu_aot.py:0:22
	v_lshl_add_u64 v[6:7], v[0:1], 1, s[42:43]
	.loc	1 30 22                         ; reglu_aot.py:30:22
	global_load_ushort v5, v[6:7], off
.LBB0_2:
	.loc	1 0 22                          ; reglu_aot.py:0:22
	s_or_b64 exec, exec, s[12:13]
	.loc	1 22 31 is_stmt 1               ; reglu_aot.py:22:31
	s_or_b32 s76, s33, 2
	.loc	1 24 40                         ; reglu_aot.py:24:40
	s_mul_i32 s12, s76, s8
	.loc	1 24 22 is_stmt 0               ; reglu_aot.py:24:22
	s_ashr_i32 s13, s12, 31
	s_lshl_b64 s[12:13], s[12:13], 1
	s_add_u32 s44, s2, s12
	s_addc_u32 s45, s3, s13
	.loc	1 29 30 is_stmt 1               ; reglu_aot.py:29:30
	s_cmp_lt_i32 s76, s6
	s_cselect_b64 s[12:13], -1, 0
	.loc	1 29 36 is_stmt 0               ; reglu_aot.py:29:36
	s_and_b64 s[12:13], vcc, s[12:13]
	.loc	1 30 22 is_stmt 1               ; reglu_aot.py:30:22
	s_and_saveexec_b64 s[14:15], s[12:13]
	s_cbranch_execz .LBB0_4
; %bb.3:
	.loc	1 24 53                         ; reglu_aot.py:24:53
	v_lshl_add_u64 v[2:3], v[0:1], 1, s[44:45]
	.loc	1 30 22                         ; reglu_aot.py:30:22
	global_load_ushort v2, v[2:3], off
.LBB0_4:
	.loc	1 0 22 is_stmt 0                ; reglu_aot.py:0:22
	s_or_b64 exec, exec, s[14:15]
	.loc	1 22 31 is_stmt 1               ; reglu_aot.py:22:31
	s_or_b32 s77, s33, 4
	.loc	1 24 40                         ; reglu_aot.py:24:40
	s_mul_i32 s14, s77, s8
	.loc	1 24 22 is_stmt 0               ; reglu_aot.py:24:22
	s_ashr_i32 s15, s14, 31
	s_lshl_b64 s[14:15], s[14:15], 1
	s_add_u32 s46, s2, s14
	s_addc_u32 s47, s3, s15
	.loc	1 29 30 is_stmt 1               ; reglu_aot.py:29:30
	s_cmp_lt_i32 s77, s6
	s_cselect_b64 s[14:15], -1, 0
	.loc	1 30 22                         ; reglu_aot.py:30:22
	v_mov_b32_e32 v3, 0
	.loc	1 29 36                         ; reglu_aot.py:29:36
	s_and_b64 s[14:15], vcc, s[14:15]
	v_mov_b32_e32 v8, v3
	.loc	1 30 22                         ; reglu_aot.py:30:22
	s_and_saveexec_b64 s[16:17], s[14:15]
	s_cbranch_execz .LBB0_6
; %bb.5:
	.loc	1 24 53                         ; reglu_aot.py:24:53
	v_lshl_add_u64 v[6:7], v[0:1], 1, s[46:47]
	.loc	1 30 22                         ; reglu_aot.py:30:22
	global_load_ushort v8, v[6:7], off
.LBB0_6:
	.loc	1 0 22 is_stmt 0                ; reglu_aot.py:0:22
	s_or_b64 exec, exec, s[16:17]
	.loc	1 22 31 is_stmt 1               ; reglu_aot.py:22:31
	s_or_b32 s78, s33, 6
	.loc	1 24 40                         ; reglu_aot.py:24:40
	s_mul_i32 s16, s78, s8
	.loc	1 24 22 is_stmt 0               ; reglu_aot.py:24:22
	s_ashr_i32 s17, s16, 31
	s_lshl_b64 s[16:17], s[16:17], 1
	s_add_u32 s48, s2, s16
	s_addc_u32 s49, s3, s17
	.loc	1 29 30 is_stmt 1               ; reglu_aot.py:29:30
	s_cmp_lt_i32 s78, s6
	s_cselect_b64 s[16:17], -1, 0
	.loc	1 29 36 is_stmt 0               ; reglu_aot.py:29:36
	s_and_b64 s[16:17], vcc, s[16:17]
	.loc	1 30 22 is_stmt 1               ; reglu_aot.py:30:22
	s_and_saveexec_b64 s[18:19], s[16:17]
	s_cbranch_execz .LBB0_8
; %bb.7:
	.loc	1 24 53                         ; reglu_aot.py:24:53
	v_lshl_add_u64 v[6:7], v[0:1], 1, s[48:49]
	.loc	1 30 22                         ; reglu_aot.py:30:22
	global_load_ushort v3, v[6:7], off
.LBB0_8:
	.loc	1 0 22 is_stmt 0                ; reglu_aot.py:0:22
	s_or_b64 exec, exec, s[18:19]
	.loc	1 22 31 is_stmt 1               ; reglu_aot.py:22:31
	s_or_b32 s79, s33, 8
	.loc	1 24 40                         ; reglu_aot.py:24:40
	s_mul_i32 s18, s79, s8
	.loc	1 24 22 is_stmt 0               ; reglu_aot.py:24:22
	s_ashr_i32 s19, s18, 31
	s_lshl_b64 s[18:19], s[18:19], 1
	s_add_u32 s50, s2, s18
	s_addc_u32 s51, s3, s19
	.loc	1 29 30 is_stmt 1               ; reglu_aot.py:29:30
	s_cmp_lt_i32 s79, s6
	s_cselect_b64 s[18:19], -1, 0
	.loc	1 30 22                         ; reglu_aot.py:30:22
	v_mov_b32_e32 v6, 0
	.loc	1 29 36                         ; reglu_aot.py:29:36
	s_and_b64 s[18:19], vcc, s[18:19]
	v_mov_b32_e32 v10, v6
	.loc	1 30 22                         ; reglu_aot.py:30:22
	s_and_saveexec_b64 s[20:21], s[18:19]
	s_cbranch_execz .LBB0_10
; %bb.9:
	.loc	1 24 53                         ; reglu_aot.py:24:53
	v_lshl_add_u64 v[10:11], v[0:1], 1, s[50:51]
	.loc	1 30 22                         ; reglu_aot.py:30:22
	global_load_ushort v10, v[10:11], off
.LBB0_10:
	.loc	1 0 22 is_stmt 0                ; reglu_aot.py:0:22
	;; [unrolled: 53-line block ×7, first 2 shown]
	s_or_b64 exec, exec, s[72:73]
	.loc	1 22 31 is_stmt 1               ; reglu_aot.py:22:31
	s_or_b32 s90, s33, 30
	.loc	1 24 40                         ; reglu_aot.py:24:40
	s_mul_i32 s72, s90, s8
	.loc	1 24 22 is_stmt 0               ; reglu_aot.py:24:22
	s_ashr_i32 s73, s72, 31
	s_lshl_b64 s[72:73], s[72:73], 1
	s_add_u32 s72, s2, s72
	s_addc_u32 s73, s3, s73
	.loc	1 29 30 is_stmt 1               ; reglu_aot.py:29:30
	s_cmp_lt_i32 s90, s6
	s_cselect_b64 s[2:3], -1, 0
	.loc	1 29 36 is_stmt 0               ; reglu_aot.py:29:36
	s_and_b64 s[2:3], vcc, s[2:3]
	.loc	1 30 22 is_stmt 1               ; reglu_aot.py:30:22
	s_and_saveexec_b64 s[74:75], s[2:3]
	s_cbranch_execz .LBB0_32
; %bb.31:
	.loc	1 24 53                         ; reglu_aot.py:24:53
	v_lshl_add_u64 v[0:1], v[0:1], 1, s[72:73]
	.loc	1 30 22                         ; reglu_aot.py:30:22
	global_load_ushort v15, v[0:1], off
.LBB0_32:
	.loc	1 0 22 is_stmt 0                ; reglu_aot.py:0:22
	s_or_b64 exec, exec, s[74:75]
	.loc	1 26 66 is_stmt 1               ; reglu_aot.py:26:66
	v_add_u32_e32 v0, s7, v4
	.loc	1 26 75 is_stmt 0               ; reglu_aot.py:26:75
	v_mul_lo_u32 v0, v0, s9
	.loc	1 31 22 is_stmt 1               ; reglu_aot.py:31:22
	v_mov_b32_e32 v32, 0
	.loc	1 26 47                         ; reglu_aot.py:26:47
	v_ashrrev_i32_e32 v1, 31, v0
	v_mov_b32_e32 v34, v32
	.loc	1 31 22                         ; reglu_aot.py:31:22
	s_and_saveexec_b64 s[6:7], s[0:1]
	s_cbranch_execz .LBB0_34
; %bb.33:
	.loc	1 26 47                         ; reglu_aot.py:26:47
	v_lshl_add_u64 v[20:21], v[0:1], 1, s[42:43]
	.loc	1 31 22                         ; reglu_aot.py:31:22
	global_load_ushort v34, v[20:21], off
.LBB0_34:
	.loc	1 0 22 is_stmt 0                ; reglu_aot.py:0:22
	s_or_b64 exec, exec, s[6:7]
	.loc	1 31 22                         ; reglu_aot.py:31:22
	s_and_saveexec_b64 s[6:7], s[12:13]
	s_cbranch_execz .LBB0_36
; %bb.35:
	.loc	1 26 47 is_stmt 1               ; reglu_aot.py:26:47
	v_lshl_add_u64 v[20:21], v[0:1], 1, s[44:45]
	.loc	1 31 22                         ; reglu_aot.py:31:22
	global_load_ushort v32, v[20:21], off
.LBB0_36:
	.loc	1 0 22 is_stmt 0                ; reglu_aot.py:0:22
	s_or_b64 exec, exec, s[6:7]
	.loc	1 31 22                         ; reglu_aot.py:31:22
	v_mov_b32_e32 v30, 0
	v_mov_b32_e32 v33, v30
	s_and_saveexec_b64 s[6:7], s[14:15]
	s_cbranch_execz .LBB0_38
; %bb.37:
	.loc	1 26 47 is_stmt 1               ; reglu_aot.py:26:47
	v_lshl_add_u64 v[20:21], v[0:1], 1, s[46:47]
	.loc	1 31 22                         ; reglu_aot.py:31:22
	global_load_ushort v33, v[20:21], off
.LBB0_38:
	.loc	1 0 22 is_stmt 0                ; reglu_aot.py:0:22
	s_or_b64 exec, exec, s[6:7]
	.loc	1 31 22                         ; reglu_aot.py:31:22
	s_and_saveexec_b64 s[6:7], s[16:17]
	s_cbranch_execz .LBB0_40
; %bb.39:
	.loc	1 26 47 is_stmt 1               ; reglu_aot.py:26:47
	v_lshl_add_u64 v[20:21], v[0:1], 1, s[48:49]
	.loc	1 31 22                         ; reglu_aot.py:31:22
	global_load_ushort v30, v[20:21], off
.LBB0_40:
	.loc	1 0 22 is_stmt 0                ; reglu_aot.py:0:22
	s_or_b64 exec, exec, s[6:7]
	.loc	1 31 22                         ; reglu_aot.py:31:22
	v_mov_b32_e32 v28, 0
	v_mov_b32_e32 v31, v28
	s_and_saveexec_b64 s[6:7], s[18:19]
	s_cbranch_execz .LBB0_42
; %bb.41:
	.loc	1 26 47 is_stmt 1               ; reglu_aot.py:26:47
	v_lshl_add_u64 v[20:21], v[0:1], 1, s[50:51]
	.loc	1 31 22                         ; reglu_aot.py:31:22
	global_load_ushort v31, v[20:21], off
.LBB0_42:
	;; [unrolled: 24-line block ×7, first 2 shown]
	.loc	1 0 22 is_stmt 0                ; reglu_aot.py:0:22
	s_or_b64 exec, exec, s[6:7]
	.loc	1 31 22                         ; reglu_aot.py:31:22
	s_and_saveexec_b64 s[6:7], s[2:3]
	s_cbranch_execz .LBB0_64
; %bb.63:
	.loc	1 26 47 is_stmt 1               ; reglu_aot.py:26:47
	v_lshl_add_u64 v[0:1], v[0:1], 1, s[72:73]
	.loc	1 31 22                         ; reglu_aot.py:31:22
	global_load_ushort v19, v[0:1], off
.LBB0_64:
	.loc	1 0 22 is_stmt 0                ; reglu_aot.py:0:22
	s_or_b64 exec, exec, s[6:7]
	.loc	1 28 69 is_stmt 1               ; reglu_aot.py:28:69
	v_mul_lo_u32 v0, v4, s11
	.loc	1 28 51 is_stmt 0               ; reglu_aot.py:28:51
	v_ashrrev_i32_e32 v1, 31, v0
	.loc	1 34 20 is_stmt 1               ; reglu_aot.py:34:20
	s_and_saveexec_b64 s[6:7], s[0:1]
	s_cbranch_execnz .LBB0_81
; %bb.65:
	.loc	1 0 20 is_stmt 0                ; reglu_aot.py:0:20
	s_or_b64 exec, exec, s[6:7]
	.loc	1 34 20                         ; reglu_aot.py:34:20
	s_and_saveexec_b64 s[0:1], s[12:13]
	s_cbranch_execnz .LBB0_82
.LBB0_66:
	.loc	1 0 20                          ; reglu_aot.py:0:20
	s_or_b64 exec, exec, s[0:1]
	.loc	1 34 20                         ; reglu_aot.py:34:20
	s_and_saveexec_b64 s[0:1], s[14:15]
	s_cbranch_execnz .LBB0_83
.LBB0_67:
	.loc	1 0 20                          ; reglu_aot.py:0:20
	s_or_b64 exec, exec, s[0:1]
	.loc	1 34 20                         ; reglu_aot.py:34:20
	s_and_saveexec_b64 s[0:1], s[16:17]
	s_cbranch_execnz .LBB0_84
.LBB0_68:
	.loc	1 0 20                          ; reglu_aot.py:0:20
	s_or_b64 exec, exec, s[0:1]
	.loc	1 34 20                         ; reglu_aot.py:34:20
	s_and_saveexec_b64 s[0:1], s[18:19]
	s_cbranch_execnz .LBB0_85
.LBB0_69:
	.loc	1 0 20                          ; reglu_aot.py:0:20
	s_or_b64 exec, exec, s[0:1]
	.loc	1 34 20                         ; reglu_aot.py:34:20
	s_and_saveexec_b64 s[0:1], s[20:21]
	s_cbranch_execnz .LBB0_86
.LBB0_70:
	.loc	1 0 20                          ; reglu_aot.py:0:20
	s_or_b64 exec, exec, s[0:1]
	.loc	1 34 20                         ; reglu_aot.py:34:20
	s_and_saveexec_b64 s[0:1], s[22:23]
	s_cbranch_execnz .LBB0_87
.LBB0_71:
	.loc	1 0 20                          ; reglu_aot.py:0:20
	s_or_b64 exec, exec, s[0:1]
	.loc	1 34 20                         ; reglu_aot.py:34:20
	s_and_saveexec_b64 s[0:1], s[24:25]
	s_cbranch_execnz .LBB0_88
.LBB0_72:
	.loc	1 0 20                          ; reglu_aot.py:0:20
	s_or_b64 exec, exec, s[0:1]
	.loc	1 34 20                         ; reglu_aot.py:34:20
	s_and_saveexec_b64 s[0:1], s[26:27]
	s_cbranch_execnz .LBB0_89
.LBB0_73:
	.loc	1 0 20                          ; reglu_aot.py:0:20
	s_or_b64 exec, exec, s[0:1]
	.loc	1 34 20                         ; reglu_aot.py:34:20
	s_and_saveexec_b64 s[0:1], s[28:29]
	s_cbranch_execnz .LBB0_90
.LBB0_74:
	.loc	1 0 20                          ; reglu_aot.py:0:20
	s_or_b64 exec, exec, s[0:1]
	.loc	1 34 20                         ; reglu_aot.py:34:20
	s_and_saveexec_b64 s[0:1], s[30:31]
	s_cbranch_execnz .LBB0_91
.LBB0_75:
	.loc	1 0 20                          ; reglu_aot.py:0:20
	s_or_b64 exec, exec, s[0:1]
	.loc	1 34 20                         ; reglu_aot.py:34:20
	s_and_saveexec_b64 s[0:1], s[34:35]
	s_cbranch_execnz .LBB0_92
.LBB0_76:
	.loc	1 0 20                          ; reglu_aot.py:0:20
	s_or_b64 exec, exec, s[0:1]
	.loc	1 34 20                         ; reglu_aot.py:34:20
	s_and_saveexec_b64 s[0:1], s[36:37]
	s_cbranch_execnz .LBB0_93
.LBB0_77:
	.loc	1 0 20                          ; reglu_aot.py:0:20
	s_or_b64 exec, exec, s[0:1]
	.loc	1 34 20                         ; reglu_aot.py:34:20
	s_and_saveexec_b64 s[0:1], s[38:39]
	s_cbranch_execnz .LBB0_94
.LBB0_78:
	.loc	1 0 20                          ; reglu_aot.py:0:20
	s_or_b64 exec, exec, s[0:1]
	.loc	1 34 20                         ; reglu_aot.py:34:20
	s_and_saveexec_b64 s[0:1], s[40:41]
	s_cbranch_execnz .LBB0_95
.LBB0_79:
	.loc	1 0 20                          ; reglu_aot.py:0:20
	s_or_b64 exec, exec, s[0:1]
	.loc	1 34 20                         ; reglu_aot.py:34:20
	s_and_saveexec_b64 s[0:1], s[2:3]
	s_cbranch_execnz .LBB0_96
.LBB0_80:
	.loc	1 34 4                          ; reglu_aot.py:34:4
	s_endpgm
.LBB0_81:
	.loc	1 28 38 is_stmt 1               ; reglu_aot.py:28:38
	s_mul_i32 s0, s33, s10
	.loc	1 28 20 is_stmt 0               ; reglu_aot.py:28:20
	s_ashr_i32 s1, s0, 31
	s_lshl_b64 s[0:1], s[0:1], 1
	s_add_u32 s0, s4, s0
	s_waitcnt vmcnt(0)
	v_max_f16_e32 v4, v5, v5
	s_addc_u32 s1, s5, s1
	v_max_f16_e32 v4, 0, v4
	.loc	1 28 51                         ; reglu_aot.py:28:51
	v_lshl_add_u64 v[36:37], v[0:1], 1, s[0:1]
	v_mul_f16_e32 v4, v4, v34
	.loc	1 34 20 is_stmt 1               ; reglu_aot.py:34:20
	global_store_short v[36:37], v4, off
	s_or_b64 exec, exec, s[6:7]
	s_and_saveexec_b64 s[0:1], s[12:13]
	s_cbranch_execz .LBB0_66
.LBB0_82:
	.loc	1 28 38                         ; reglu_aot.py:28:38
	s_mul_i32 s6, s76, s10
	.loc	1 28 20 is_stmt 0               ; reglu_aot.py:28:20
	s_ashr_i32 s7, s6, 31
	s_lshl_b64 s[6:7], s[6:7], 1
	.loc	1 32 42 is_stmt 1               ; reglu_aot.py:32:42
	s_waitcnt vmcnt(0)
	v_max_f16_e32 v2, v2, v2
	.loc	1 28 20                         ; reglu_aot.py:28:20
	s_add_u32 s6, s4, s6
	.loc	1 32 42                         ; reglu_aot.py:32:42
	v_max_f16_e32 v2, 0, v2
	.loc	1 28 20                         ; reglu_aot.py:28:20
	s_addc_u32 s7, s5, s7
	.loc	1 33 20                         ; reglu_aot.py:33:20
	v_mul_f16_e32 v2, v2, v32
	.loc	1 28 51                         ; reglu_aot.py:28:51
	v_lshl_add_u64 v[4:5], v[0:1], 1, s[6:7]
	.loc	1 34 20                         ; reglu_aot.py:34:20
	global_store_short v[4:5], v2, off
	s_or_b64 exec, exec, s[0:1]
	s_and_saveexec_b64 s[0:1], s[14:15]
	s_cbranch_execz .LBB0_67
.LBB0_83:
	.loc	1 28 38                         ; reglu_aot.py:28:38
	s_mul_i32 s6, s77, s10
	.loc	1 28 20 is_stmt 0               ; reglu_aot.py:28:20
	s_ashr_i32 s7, s6, 31
	s_lshl_b64 s[6:7], s[6:7], 1
	.loc	1 32 42 is_stmt 1               ; reglu_aot.py:32:42
	s_waitcnt vmcnt(0)
	v_max_f16_e32 v2, v8, v8
	.loc	1 28 20                         ; reglu_aot.py:28:20
	s_add_u32 s6, s4, s6
	.loc	1 32 42                         ; reglu_aot.py:32:42
	v_max_f16_e32 v2, 0, v2
	.loc	1 28 20                         ; reglu_aot.py:28:20
	s_addc_u32 s7, s5, s7
	.loc	1 33 20                         ; reglu_aot.py:33:20
	v_mul_f16_e32 v2, v2, v33
	.loc	1 28 51                         ; reglu_aot.py:28:51
	v_lshl_add_u64 v[4:5], v[0:1], 1, s[6:7]
	.loc	1 34 20                         ; reglu_aot.py:34:20
	global_store_short v[4:5], v2, off
	s_or_b64 exec, exec, s[0:1]
	s_and_saveexec_b64 s[0:1], s[16:17]
	s_cbranch_execz .LBB0_68
.LBB0_84:
	.loc	1 28 38                         ; reglu_aot.py:28:38
	s_mul_i32 s6, s78, s10
	.loc	1 28 20 is_stmt 0               ; reglu_aot.py:28:20
	s_ashr_i32 s7, s6, 31
	s_lshl_b64 s[6:7], s[6:7], 1
	.loc	1 32 42 is_stmt 1               ; reglu_aot.py:32:42
	s_waitcnt vmcnt(0)
	v_max_f16_e32 v2, v3, v3
	.loc	1 28 20                         ; reglu_aot.py:28:20
	s_add_u32 s6, s4, s6
	.loc	1 32 42                         ; reglu_aot.py:32:42
	v_max_f16_e32 v2, 0, v2
	.loc	1 28 20                         ; reglu_aot.py:28:20
	s_addc_u32 s7, s5, s7
	.loc	1 33 20                         ; reglu_aot.py:33:20
	v_mul_f16_e32 v4, v2, v30
	.loc	1 28 51                         ; reglu_aot.py:28:51
	v_lshl_add_u64 v[2:3], v[0:1], 1, s[6:7]
	.loc	1 34 20                         ; reglu_aot.py:34:20
	global_store_short v[2:3], v4, off
	s_or_b64 exec, exec, s[0:1]
	s_and_saveexec_b64 s[0:1], s[18:19]
	s_cbranch_execz .LBB0_69
.LBB0_85:
	.loc	1 28 38                         ; reglu_aot.py:28:38
	s_mul_i32 s6, s79, s10
	.loc	1 28 20 is_stmt 0               ; reglu_aot.py:28:20
	s_ashr_i32 s7, s6, 31
	s_lshl_b64 s[6:7], s[6:7], 1
	.loc	1 32 42 is_stmt 1               ; reglu_aot.py:32:42
	s_waitcnt vmcnt(0)
	v_max_f16_e32 v2, v10, v10
	.loc	1 28 20                         ; reglu_aot.py:28:20
	s_add_u32 s6, s4, s6
	.loc	1 32 42                         ; reglu_aot.py:32:42
	v_max_f16_e32 v2, 0, v2
	.loc	1 28 20                         ; reglu_aot.py:28:20
	s_addc_u32 s7, s5, s7
	.loc	1 33 20                         ; reglu_aot.py:33:20
	v_mul_f16_e32 v4, v2, v31
	.loc	1 28 51                         ; reglu_aot.py:28:51
	v_lshl_add_u64 v[2:3], v[0:1], 1, s[6:7]
	.loc	1 34 20                         ; reglu_aot.py:34:20
	global_store_short v[2:3], v4, off
	s_or_b64 exec, exec, s[0:1]
	s_and_saveexec_b64 s[0:1], s[20:21]
	s_cbranch_execz .LBB0_70
.LBB0_86:
	.loc	1 28 38                         ; reglu_aot.py:28:38
	s_mul_i32 s6, s80, s10
	.loc	1 28 20 is_stmt 0               ; reglu_aot.py:28:20
	s_ashr_i32 s7, s6, 31
	s_lshl_b64 s[6:7], s[6:7], 1
	.loc	1 32 42 is_stmt 1               ; reglu_aot.py:32:42
	s_waitcnt vmcnt(0)
	v_max_f16_e32 v2, v6, v6
	.loc	1 28 20                         ; reglu_aot.py:28:20
	s_add_u32 s6, s4, s6
	.loc	1 32 42                         ; reglu_aot.py:32:42
	v_max_f16_e32 v2, 0, v2
	.loc	1 28 20                         ; reglu_aot.py:28:20
	s_addc_u32 s7, s5, s7
	.loc	1 33 20                         ; reglu_aot.py:33:20
	v_mul_f16_e32 v4, v2, v28
	.loc	1 28 51                         ; reglu_aot.py:28:51
	v_lshl_add_u64 v[2:3], v[0:1], 1, s[6:7]
	.loc	1 34 20                         ; reglu_aot.py:34:20
	global_store_short v[2:3], v4, off
	s_or_b64 exec, exec, s[0:1]
	s_and_saveexec_b64 s[0:1], s[22:23]
	s_cbranch_execz .LBB0_71
.LBB0_87:
	.loc	1 28 38                         ; reglu_aot.py:28:38
	s_mul_i32 s6, s81, s10
	.loc	1 28 20 is_stmt 0               ; reglu_aot.py:28:20
	s_ashr_i32 s7, s6, 31
	s_lshl_b64 s[6:7], s[6:7], 1
	.loc	1 32 42 is_stmt 1               ; reglu_aot.py:32:42
	s_waitcnt vmcnt(0)
	v_max_f16_e32 v2, v12, v12
	.loc	1 28 20                         ; reglu_aot.py:28:20
	s_add_u32 s6, s4, s6
	.loc	1 32 42                         ; reglu_aot.py:32:42
	v_max_f16_e32 v2, 0, v2
	.loc	1 28 20                         ; reglu_aot.py:28:20
	s_addc_u32 s7, s5, s7
	.loc	1 33 20                         ; reglu_aot.py:33:20
	v_mul_f16_e32 v4, v2, v29
	.loc	1 28 51                         ; reglu_aot.py:28:51
	v_lshl_add_u64 v[2:3], v[0:1], 1, s[6:7]
	.loc	1 34 20                         ; reglu_aot.py:34:20
	global_store_short v[2:3], v4, off
	s_or_b64 exec, exec, s[0:1]
	s_and_saveexec_b64 s[0:1], s[24:25]
	s_cbranch_execz .LBB0_72
.LBB0_88:
	.loc	1 28 38                         ; reglu_aot.py:28:38
	s_mul_i32 s6, s82, s10
	.loc	1 28 20 is_stmt 0               ; reglu_aot.py:28:20
	s_ashr_i32 s7, s6, 31
	s_lshl_b64 s[6:7], s[6:7], 1
	.loc	1 32 42 is_stmt 1               ; reglu_aot.py:32:42
	s_waitcnt vmcnt(0)
	v_max_f16_e32 v2, v7, v7
	.loc	1 28 20                         ; reglu_aot.py:28:20
	s_add_u32 s6, s4, s6
	.loc	1 32 42                         ; reglu_aot.py:32:42
	v_max_f16_e32 v2, 0, v2
	.loc	1 28 20                         ; reglu_aot.py:28:20
	s_addc_u32 s7, s5, s7
	.loc	1 33 20                         ; reglu_aot.py:33:20
	v_mul_f16_e32 v4, v2, v26
	.loc	1 28 51                         ; reglu_aot.py:28:51
	v_lshl_add_u64 v[2:3], v[0:1], 1, s[6:7]
	.loc	1 34 20                         ; reglu_aot.py:34:20
	global_store_short v[2:3], v4, off
	s_or_b64 exec, exec, s[0:1]
	s_and_saveexec_b64 s[0:1], s[26:27]
	s_cbranch_execz .LBB0_73
.LBB0_89:
	.loc	1 28 38                         ; reglu_aot.py:28:38
	s_mul_i32 s6, s83, s10
	.loc	1 28 20 is_stmt 0               ; reglu_aot.py:28:20
	s_ashr_i32 s7, s6, 31
	s_lshl_b64 s[6:7], s[6:7], 1
	.loc	1 32 42 is_stmt 1               ; reglu_aot.py:32:42
	s_waitcnt vmcnt(0)
	v_max_f16_e32 v2, v14, v14
	.loc	1 28 20                         ; reglu_aot.py:28:20
	s_add_u32 s6, s4, s6
	.loc	1 32 42                         ; reglu_aot.py:32:42
	v_max_f16_e32 v2, 0, v2
	.loc	1 28 20                         ; reglu_aot.py:28:20
	s_addc_u32 s7, s5, s7
	.loc	1 33 20                         ; reglu_aot.py:33:20
	v_mul_f16_e32 v4, v2, v27
	.loc	1 28 51                         ; reglu_aot.py:28:51
	v_lshl_add_u64 v[2:3], v[0:1], 1, s[6:7]
	.loc	1 34 20                         ; reglu_aot.py:34:20
	global_store_short v[2:3], v4, off
	s_or_b64 exec, exec, s[0:1]
	s_and_saveexec_b64 s[0:1], s[28:29]
	s_cbranch_execz .LBB0_74
.LBB0_90:
	.loc	1 28 38                         ; reglu_aot.py:28:38
	s_mul_i32 s6, s84, s10
	.loc	1 28 20 is_stmt 0               ; reglu_aot.py:28:20
	s_ashr_i32 s7, s6, 31
	s_lshl_b64 s[6:7], s[6:7], 1
	.loc	1 32 42 is_stmt 1               ; reglu_aot.py:32:42
	s_waitcnt vmcnt(0)
	v_max_f16_e32 v2, v9, v9
	.loc	1 28 20                         ; reglu_aot.py:28:20
	s_add_u32 s6, s4, s6
	.loc	1 32 42                         ; reglu_aot.py:32:42
	v_max_f16_e32 v2, 0, v2
	.loc	1 28 20                         ; reglu_aot.py:28:20
	s_addc_u32 s7, s5, s7
	.loc	1 33 20                         ; reglu_aot.py:33:20
	v_mul_f16_e32 v4, v2, v24
	.loc	1 28 51                         ; reglu_aot.py:28:51
	v_lshl_add_u64 v[2:3], v[0:1], 1, s[6:7]
	.loc	1 34 20                         ; reglu_aot.py:34:20
	global_store_short v[2:3], v4, off
	s_or_b64 exec, exec, s[0:1]
	s_and_saveexec_b64 s[0:1], s[30:31]
	s_cbranch_execz .LBB0_75
.LBB0_91:
	.loc	1 28 38                         ; reglu_aot.py:28:38
	s_mul_i32 s6, s85, s10
	.loc	1 28 20 is_stmt 0               ; reglu_aot.py:28:20
	s_ashr_i32 s7, s6, 31
	s_lshl_b64 s[6:7], s[6:7], 1
	.loc	1 32 42 is_stmt 1               ; reglu_aot.py:32:42
	s_waitcnt vmcnt(0)
	v_max_f16_e32 v2, v16, v16
	.loc	1 28 20                         ; reglu_aot.py:28:20
	s_add_u32 s6, s4, s6
	.loc	1 32 42                         ; reglu_aot.py:32:42
	v_max_f16_e32 v2, 0, v2
	.loc	1 28 20                         ; reglu_aot.py:28:20
	s_addc_u32 s7, s5, s7
	.loc	1 33 20                         ; reglu_aot.py:33:20
	v_mul_f16_e32 v4, v2, v25
	.loc	1 28 51                         ; reglu_aot.py:28:51
	v_lshl_add_u64 v[2:3], v[0:1], 1, s[6:7]
	.loc	1 34 20                         ; reglu_aot.py:34:20
	global_store_short v[2:3], v4, off
	s_or_b64 exec, exec, s[0:1]
	s_and_saveexec_b64 s[0:1], s[34:35]
	s_cbranch_execz .LBB0_76
.LBB0_92:
	.loc	1 28 38                         ; reglu_aot.py:28:38
	s_mul_i32 s6, s86, s10
	.loc	1 28 20 is_stmt 0               ; reglu_aot.py:28:20
	s_ashr_i32 s7, s6, 31
	s_lshl_b64 s[6:7], s[6:7], 1
	.loc	1 32 42 is_stmt 1               ; reglu_aot.py:32:42
	s_waitcnt vmcnt(0)
	v_max_f16_e32 v2, v11, v11
	.loc	1 28 20                         ; reglu_aot.py:28:20
	s_add_u32 s6, s4, s6
	.loc	1 32 42                         ; reglu_aot.py:32:42
	v_max_f16_e32 v2, 0, v2
	.loc	1 28 20                         ; reglu_aot.py:28:20
	s_addc_u32 s7, s5, s7
	.loc	1 33 20                         ; reglu_aot.py:33:20
	v_mul_f16_e32 v4, v2, v22
	.loc	1 28 51                         ; reglu_aot.py:28:51
	v_lshl_add_u64 v[2:3], v[0:1], 1, s[6:7]
	.loc	1 34 20                         ; reglu_aot.py:34:20
	global_store_short v[2:3], v4, off
	s_or_b64 exec, exec, s[0:1]
	s_and_saveexec_b64 s[0:1], s[36:37]
	s_cbranch_execz .LBB0_77
.LBB0_93:
	.loc	1 28 38                         ; reglu_aot.py:28:38
	s_mul_i32 s6, s87, s10
	.loc	1 28 20 is_stmt 0               ; reglu_aot.py:28:20
	s_ashr_i32 s7, s6, 31
	s_lshl_b64 s[6:7], s[6:7], 1
	.loc	1 32 42 is_stmt 1               ; reglu_aot.py:32:42
	s_waitcnt vmcnt(0)
	v_max_f16_e32 v2, v17, v17
	.loc	1 28 20                         ; reglu_aot.py:28:20
	s_add_u32 s6, s4, s6
	.loc	1 32 42                         ; reglu_aot.py:32:42
	v_max_f16_e32 v2, 0, v2
	.loc	1 28 20                         ; reglu_aot.py:28:20
	s_addc_u32 s7, s5, s7
	.loc	1 33 20                         ; reglu_aot.py:33:20
	v_mul_f16_e32 v4, v2, v23
	.loc	1 28 51                         ; reglu_aot.py:28:51
	v_lshl_add_u64 v[2:3], v[0:1], 1, s[6:7]
	.loc	1 34 20                         ; reglu_aot.py:34:20
	global_store_short v[2:3], v4, off
	s_or_b64 exec, exec, s[0:1]
	s_and_saveexec_b64 s[0:1], s[38:39]
	s_cbranch_execz .LBB0_78
.LBB0_94:
	.loc	1 28 38                         ; reglu_aot.py:28:38
	s_mul_i32 s6, s88, s10
	.loc	1 28 20 is_stmt 0               ; reglu_aot.py:28:20
	s_ashr_i32 s7, s6, 31
	s_lshl_b64 s[6:7], s[6:7], 1
	.loc	1 32 42 is_stmt 1               ; reglu_aot.py:32:42
	s_waitcnt vmcnt(0)
	v_max_f16_e32 v2, v13, v13
	.loc	1 28 20                         ; reglu_aot.py:28:20
	s_add_u32 s6, s4, s6
	.loc	1 32 42                         ; reglu_aot.py:32:42
	v_max_f16_e32 v2, 0, v2
	.loc	1 28 20                         ; reglu_aot.py:28:20
	s_addc_u32 s7, s5, s7
	.loc	1 33 20                         ; reglu_aot.py:33:20
	v_mul_f16_e32 v4, v2, v20
	.loc	1 28 51                         ; reglu_aot.py:28:51
	v_lshl_add_u64 v[2:3], v[0:1], 1, s[6:7]
	.loc	1 34 20                         ; reglu_aot.py:34:20
	global_store_short v[2:3], v4, off
	s_or_b64 exec, exec, s[0:1]
	s_and_saveexec_b64 s[0:1], s[40:41]
	s_cbranch_execz .LBB0_79
.LBB0_95:
	.loc	1 28 38                         ; reglu_aot.py:28:38
	s_mul_i32 s6, s89, s10
	.loc	1 28 20 is_stmt 0               ; reglu_aot.py:28:20
	s_ashr_i32 s7, s6, 31
	s_lshl_b64 s[6:7], s[6:7], 1
	.loc	1 32 42 is_stmt 1               ; reglu_aot.py:32:42
	s_waitcnt vmcnt(0)
	v_max_f16_e32 v2, v18, v18
	.loc	1 28 20                         ; reglu_aot.py:28:20
	s_add_u32 s6, s4, s6
	.loc	1 32 42                         ; reglu_aot.py:32:42
	v_max_f16_e32 v2, 0, v2
	.loc	1 28 20                         ; reglu_aot.py:28:20
	s_addc_u32 s7, s5, s7
	.loc	1 33 20                         ; reglu_aot.py:33:20
	v_mul_f16_e32 v4, v2, v21
	.loc	1 28 51                         ; reglu_aot.py:28:51
	v_lshl_add_u64 v[2:3], v[0:1], 1, s[6:7]
	.loc	1 34 20                         ; reglu_aot.py:34:20
	global_store_short v[2:3], v4, off
	s_or_b64 exec, exec, s[0:1]
	s_and_saveexec_b64 s[0:1], s[2:3]
	s_cbranch_execz .LBB0_80
.LBB0_96:
	.loc	1 28 38                         ; reglu_aot.py:28:38
	s_mul_i32 s0, s90, s10
	.loc	1 28 20 is_stmt 0               ; reglu_aot.py:28:20
	s_ashr_i32 s1, s0, 31
	s_lshl_b64 s[0:1], s[0:1], 1
	.loc	1 32 42 is_stmt 1               ; reglu_aot.py:32:42
	s_waitcnt vmcnt(0)
	v_max_f16_e32 v2, v15, v15
	.loc	1 28 20                         ; reglu_aot.py:28:20
	s_add_u32 s0, s4, s0
	.loc	1 32 42                         ; reglu_aot.py:32:42
	v_max_f16_e32 v2, 0, v2
	.loc	1 28 20                         ; reglu_aot.py:28:20
	s_addc_u32 s1, s5, s1
	.loc	1 33 20                         ; reglu_aot.py:33:20
	v_mul_f16_e32 v2, v2, v19
	.loc	1 28 51                         ; reglu_aot.py:28:51
	v_lshl_add_u64 v[0:1], v[0:1], 1, s[0:1]
	.loc	1 34 20                         ; reglu_aot.py:34:20
	global_store_short v[0:1], v2, off
	.loc	1 34 4 is_stmt 0                ; reglu_aot.py:34:4
	s_endpgm
.Ltmp2:
	.section	.rodata,"a",@progbits
	.p2align	6, 0x0
	.amdhsa_kernel reglu_kernel
		.amdhsa_group_segment_fixed_size 0
		.amdhsa_private_segment_fixed_size 0
		.amdhsa_kernarg_size 56
		.amdhsa_user_sgpr_count 16
		.amdhsa_user_sgpr_dispatch_ptr 0
		.amdhsa_user_sgpr_queue_ptr 0
		.amdhsa_user_sgpr_kernarg_segment_ptr 1
		.amdhsa_user_sgpr_dispatch_id 0
		.amdhsa_user_sgpr_kernarg_preload_length 14
		.amdhsa_user_sgpr_kernarg_preload_offset 0
		.amdhsa_user_sgpr_private_segment_size 0
		.amdhsa_uses_dynamic_stack 0
		.amdhsa_enable_private_segment 0
		.amdhsa_system_sgpr_workgroup_id_x 1
		.amdhsa_system_sgpr_workgroup_id_y 1
		.amdhsa_system_sgpr_workgroup_id_z 0
		.amdhsa_system_sgpr_workgroup_info 0
		.amdhsa_system_vgpr_workitem_id 0
		.amdhsa_next_free_vgpr 38
		.amdhsa_next_free_sgpr 91
		.amdhsa_accum_offset 40
		.amdhsa_reserve_vcc 1
		.amdhsa_reserve_xnack_mask 1
		.amdhsa_float_round_mode_32 0
		.amdhsa_float_round_mode_16_64 0
		.amdhsa_float_denorm_mode_32 3
		.amdhsa_float_denorm_mode_16_64 3
		.amdhsa_dx10_clamp 1
		.amdhsa_ieee_mode 1
		.amdhsa_fp16_overflow 0
		.amdhsa_tg_split 0
		.amdhsa_exception_fp_ieee_invalid_op 0
		.amdhsa_exception_fp_denorm_src 0
		.amdhsa_exception_fp_ieee_div_zero 0
		.amdhsa_exception_fp_ieee_overflow 0
		.amdhsa_exception_fp_ieee_underflow 0
		.amdhsa_exception_fp_ieee_inexact 0
		.amdhsa_exception_int_div_zero 0
	.end_amdhsa_kernel
	.text
.Lfunc_end0:
	.size	reglu_kernel, .Lfunc_end0-reglu_kernel
	.cfi_endproc
                                        ; -- End function
	.set reglu_kernel.num_vgpr, 38
	.set reglu_kernel.num_agpr, 0
	.set reglu_kernel.numbered_sgpr, 91
	.set reglu_kernel.num_named_barrier, 0
	.set reglu_kernel.private_seg_size, 0
	.set reglu_kernel.uses_vcc, 1
	.set reglu_kernel.uses_flat_scratch, 0
	.set reglu_kernel.has_dyn_sized_stack, 0
	.set reglu_kernel.has_recursion, 0
	.set reglu_kernel.has_indirect_call, 0
	.section	.AMDGPU.csdata,"",@progbits
; Kernel info:
; codeLenInByte = 3144
; TotalNumSgprs: 97
; NumVgprs: 38
; NumAgprs: 0
; TotalNumVgprs: 38
; ScratchSize: 0
; MemoryBound: 0
; FloatMode: 240
; IeeeMode: 1
; LDSByteSize: 0 bytes/workgroup (compile time only)
; SGPRBlocks: 12
; VGPRBlocks: 4
; NumSGPRsForWavesPerEU: 97
; NumVGPRsForWavesPerEU: 38
; AccumOffset: 40
; Occupancy: 8
; WaveLimiterHint : 0
; COMPUTE_PGM_RSRC2:SCRATCH_EN: 0
; COMPUTE_PGM_RSRC2:USER_SGPR: 16
; COMPUTE_PGM_RSRC2:TRAP_HANDLER: 0
; COMPUTE_PGM_RSRC2:TGID_X_EN: 1
; COMPUTE_PGM_RSRC2:TGID_Y_EN: 1
; COMPUTE_PGM_RSRC2:TGID_Z_EN: 0
; COMPUTE_PGM_RSRC2:TIDIG_COMP_CNT: 0
; COMPUTE_PGM_RSRC3_GFX90A:ACCUM_OFFSET: 9
; COMPUTE_PGM_RSRC3_GFX90A:TG_SPLIT: 0
	.text
	.p2alignl 6, 3212836864
	.fill 256, 4, 3212836864
	.section	.AMDGPU.gpr_maximums,"",@progbits
	.set amdgpu.max_num_vgpr, 0
	.set amdgpu.max_num_agpr, 0
	.set amdgpu.max_num_sgpr, 0
	.set amdgpu.max_num_named_barrier, 0
	.text
	.section	.debug_abbrev,"",@progbits
	.byte	1                               ; Abbreviation Code
	.byte	17                              ; DW_TAG_compile_unit
	.byte	0                               ; DW_CHILDREN_no
	.byte	37                              ; DW_AT_producer
	.byte	14                              ; DW_FORM_strp
	.byte	19                              ; DW_AT_language
	.byte	5                               ; DW_FORM_data2
	.byte	3                               ; DW_AT_name
	.byte	14                              ; DW_FORM_strp
	.byte	16                              ; DW_AT_stmt_list
	.byte	23                              ; DW_FORM_sec_offset
	.byte	27                              ; DW_AT_comp_dir
	.byte	14                              ; DW_FORM_strp
	.byte	17                              ; DW_AT_low_pc
	.byte	1                               ; DW_FORM_addr
	.byte	18                              ; DW_AT_high_pc
	.byte	6                               ; DW_FORM_data4
	.byte	0                               ; EOM(1)
	.byte	0                               ; EOM(2)
	;; [unrolled: 1-line block ×3, first 2 shown]
	.section	.debug_info,"",@progbits
.Lcu_begin0:
	.long	.Ldebug_info_end0-.Ldebug_info_start0 ; Length of Unit
.Ldebug_info_start0:
	.short	4                               ; DWARF version number
	.long	.debug_abbrev                   ; Offset Into Abbrev. Section
	.byte	8                               ; Address Size (in bytes)
	.byte	1                               ; Abbrev [1] 0xb:0x1f DW_TAG_compile_unit
	.long	.Linfo_string0                  ; DW_AT_producer
	.short	2                               ; DW_AT_language
	.long	.Linfo_string1                  ; DW_AT_name
	.long	.Lline_table_start0             ; DW_AT_stmt_list
	.long	.Linfo_string2                  ; DW_AT_comp_dir
	.quad	.Lfunc_begin0                   ; DW_AT_low_pc
	.long	.Lfunc_end0-.Lfunc_begin0       ; DW_AT_high_pc
.Ldebug_info_end0:
	.section	.debug_str,"MS",@progbits,1
.Linfo_string0:
	.asciz	"triton"                        ; string offset=0
.Linfo_string1:
	.asciz	"reglu_aot.py"                  ; string offset=7
.Linfo_string2:
	.asciz	"/root/src/amdgpu-assembly/repos/FlagOpen__FlagGems/triton_aot_kernels" ; string offset=20
	.section	".note.GNU-stack","",@progbits
	.amdgpu_metadata
---
amdhsa.kernels:
  - .agpr_count:     0
    .args:
      - .address_space:  global
        .offset:         0
        .size:           8
        .value_kind:     global_buffer
      - .address_space:  global
        .offset:         8
        .size:           8
        .value_kind:     global_buffer
      - .offset:         16
        .size:           4
        .value_kind:     by_value
      - .offset:         20
        .size:           4
        .value_kind:     by_value
      - .offset:         24
        .size:           4
        .value_kind:     by_value
      - .offset:         28
        .size:           4
        .value_kind:     by_value
      - .offset:         32
        .size:           4
        .value_kind:     by_value
      - .offset:         36
        .size:           4
        .value_kind:     by_value
      - .address_space:  global
        .offset:         40
        .size:           8
        .value_kind:     global_buffer
      - .address_space:  global
        .offset:         48
        .size:           8
        .value_kind:     global_buffer
    .group_segment_fixed_size: 0
    .kernarg_segment_align: 8
    .kernarg_segment_size: 56
    .max_flat_workgroup_size: 256
    .name:           reglu_kernel
    .private_segment_fixed_size: 0
    .sgpr_count:     97
    .sgpr_spill_count: 0
    .symbol:         reglu_kernel.kd
    .uniform_work_group_size: 1
    .uses_dynamic_stack: false
    .vgpr_count:     38
    .vgpr_spill_count: 0
    .wavefront_size: 64
amdhsa.target:   amdgcn-amd-amdhsa--gfx950
amdhsa.version:
  - 1
  - 2
...

	.end_amdgpu_metadata
	.section	.debug_line,"",@progbits
.Lline_table_start0:
